;; amdgpu-corpus repo=ROCm/rocFFT kind=compiled arch=gfx950 opt=O3
	.text
	.amdgcn_target "amdgcn-amd-amdhsa--gfx950"
	.amdhsa_code_object_version 6
	.protected	fft_rtc_back_len280_factors_2_7_10_2_wgs_252_tpt_28_dim3_sp_ip_CI_sbcc_twdbase8_2step_dirReg_intrinsicReadWrite ; -- Begin function fft_rtc_back_len280_factors_2_7_10_2_wgs_252_tpt_28_dim3_sp_ip_CI_sbcc_twdbase8_2step_dirReg_intrinsicReadWrite
	.globl	fft_rtc_back_len280_factors_2_7_10_2_wgs_252_tpt_28_dim3_sp_ip_CI_sbcc_twdbase8_2step_dirReg_intrinsicReadWrite
	.p2align	8
	.type	fft_rtc_back_len280_factors_2_7_10_2_wgs_252_tpt_28_dim3_sp_ip_CI_sbcc_twdbase8_2step_dirReg_intrinsicReadWrite,@function
fft_rtc_back_len280_factors_2_7_10_2_wgs_252_tpt_28_dim3_sp_ip_CI_sbcc_twdbase8_2step_dirReg_intrinsicReadWrite: ; @fft_rtc_back_len280_factors_2_7_10_2_wgs_252_tpt_28_dim3_sp_ip_CI_sbcc_twdbase8_2step_dirReg_intrinsicReadWrite
; %bb.0:
	s_load_dwordx4 s[8:11], s[0:1], 0x10
	s_mov_b32 s3, 0
	s_waitcnt lgkmcnt(0)
	s_load_dwordx2 s[12:13], s[8:9], 0x8
	s_waitcnt lgkmcnt(0)
	s_add_u32 s4, s12, -1
	s_addc_u32 s5, s13, -1
	s_add_u32 s6, 0, 0x71c4fc00
	s_addc_u32 s7, 0, 0x7c
	s_mul_hi_u32 s15, s6, -9
	s_add_i32 s7, s7, 0x1c71c6a0
	s_sub_i32 s15, s15, s6
	s_mul_i32 s18, s7, -9
	s_mul_i32 s14, s6, -9
	s_add_i32 s15, s15, s18
	s_mul_hi_u32 s16, s7, s14
	s_mul_i32 s17, s7, s14
	s_mul_i32 s19, s6, s15
	s_mul_hi_u32 s14, s6, s14
	s_mul_hi_u32 s18, s6, s15
	s_add_u32 s14, s14, s19
	s_addc_u32 s18, 0, s18
	s_add_u32 s14, s14, s17
	s_mul_hi_u32 s19, s7, s15
	s_addc_u32 s14, s18, s16
	s_addc_u32 s16, s19, 0
	s_mul_i32 s15, s7, s15
	s_add_u32 s14, s14, s15
	v_mov_b32_e32 v1, s14
	s_addc_u32 s15, 0, s16
	v_add_co_u32_e32 v1, vcc, s6, v1
	s_cmp_lg_u64 vcc, 0
	s_addc_u32 s6, s7, s15
	v_readfirstlane_b32 s15, v1
	s_mul_i32 s14, s4, s6
	s_mul_hi_u32 s16, s4, s15
	s_mul_hi_u32 s7, s4, s6
	s_add_u32 s14, s16, s14
	s_addc_u32 s7, 0, s7
	s_mul_hi_u32 s17, s5, s15
	s_mul_i32 s15, s5, s15
	s_add_u32 s14, s14, s15
	s_mul_hi_u32 s16, s5, s6
	s_addc_u32 s7, s7, s17
	s_addc_u32 s14, s16, 0
	s_mul_i32 s6, s5, s6
	s_add_u32 s6, s7, s6
	s_addc_u32 s7, 0, s14
	s_add_u32 s14, s6, 1
	s_addc_u32 s15, s7, 0
	s_add_u32 s16, s6, 2
	s_mul_i32 s18, s7, 9
	s_mul_hi_u32 s19, s6, 9
	s_addc_u32 s17, s7, 0
	s_add_i32 s19, s19, s18
	s_mul_i32 s18, s6, 9
	v_mov_b32_e32 v1, s18
	v_sub_co_u32_e32 v1, vcc, s4, v1
	s_cmp_lg_u64 vcc, 0
	s_subb_u32 s4, s5, s19
	v_subrev_co_u32_e32 v2, vcc, 9, v1
	s_cmp_lg_u64 vcc, 0
	s_subb_u32 s5, s4, 0
	v_readfirstlane_b32 s18, v2
	s_cmp_gt_u32 s18, 8
	s_cselect_b32 s18, -1, 0
	s_cmp_eq_u32 s5, 0
	s_cselect_b32 s5, s18, -1
	s_cmp_lg_u32 s5, 0
	s_cselect_b32 s5, s16, s14
	s_cselect_b32 s14, s17, s15
	v_readfirstlane_b32 s15, v1
	s_cmp_gt_u32 s15, 8
	s_cselect_b32 s15, -1, 0
	s_cmp_eq_u32 s4, 0
	s_cselect_b32 s4, s15, -1
	s_cmp_lg_u32 s4, 0
	s_cselect_b32 s5, s5, s6
	s_cselect_b32 s4, s14, s7
	s_add_u32 s14, s5, 1
	s_addc_u32 s15, s4, 0
	v_mov_b64_e32 v[2:3], s[14:15]
	v_cmp_lt_u64_e32 vcc, s[2:3], v[2:3]
	s_mov_b64 s[16:17], 0
	s_cbranch_vccnz .LBB0_2
; %bb.1:
	v_cvt_f32_u32_e32 v1, s14
	s_sub_i32 s4, 0, s14
	s_mov_b32 s17, s3
	v_rcp_iflag_f32_e32 v1, v1
	s_nop 0
	v_mul_f32_e32 v1, 0x4f7ffffe, v1
	v_cvt_u32_f32_e32 v1, v1
	s_nop 0
	v_readfirstlane_b32 s5, v1
	s_mul_i32 s4, s4, s5
	s_mul_hi_u32 s4, s5, s4
	s_add_i32 s5, s5, s4
	s_mul_hi_u32 s4, s2, s5
	s_mul_i32 s6, s4, s14
	s_sub_i32 s6, s2, s6
	s_add_i32 s5, s4, 1
	s_sub_i32 s7, s6, s14
	s_cmp_ge_u32 s6, s14
	s_cselect_b32 s4, s5, s4
	s_cselect_b32 s6, s7, s6
	s_add_i32 s5, s4, 1
	s_cmp_ge_u32 s6, s14
	s_cselect_b32 s16, s5, s4
.LBB0_2:
	s_load_dwordx2 s[20:21], s[8:9], 0x10
	s_load_dwordx4 s[4:7], s[10:11], 0x0
	s_mov_b64 s[18:19], s[16:17]
	s_waitcnt lgkmcnt(0)
	v_mov_b64_e32 v[2:3], s[20:21]
	v_cmp_lt_u64_e32 vcc, s[16:17], v[2:3]
	s_cbranch_vccnz .LBB0_4
; %bb.3:
	v_cvt_f32_u32_e32 v1, s20
	s_sub_i32 s8, 0, s20
	v_rcp_iflag_f32_e32 v1, v1
	s_nop 0
	v_mul_f32_e32 v1, 0x4f7ffffe, v1
	v_cvt_u32_f32_e32 v1, v1
	s_nop 0
	v_readfirstlane_b32 s9, v1
	s_mul_i32 s8, s8, s9
	s_mul_hi_u32 s8, s9, s8
	s_add_i32 s9, s9, s8
	s_mul_hi_u32 s8, s16, s9
	s_mul_i32 s8, s8, s20
	s_sub_i32 s8, s16, s8
	s_sub_i32 s9, s8, s20
	s_cmp_ge_u32 s8, s20
	s_cselect_b32 s8, s9, s8
	s_sub_i32 s9, s8, s20
	s_cmp_ge_u32 s8, s20
	s_cselect_b32 s18, s9, s8
.LBB0_4:
	s_mul_i32 s17, s20, s15
	s_mul_hi_u32 s19, s20, s14
	s_load_dwordx2 s[8:9], s[0:1], 0x50
	s_add_i32 s17, s19, s17
	s_mul_i32 s19, s21, s14
	s_mul_i32 s22, s20, s14
	s_load_dwordx2 s[20:21], s[10:11], 0x10
	s_add_i32 s23, s17, s19
	v_mov_b64_e32 v[2:3], s[22:23]
	v_cmp_lt_u64_e32 vcc, s[2:3], v[2:3]
	s_mov_b64 s[24:25], 0
	s_cbranch_vccnz .LBB0_6
; %bb.5:
	v_cvt_f32_u32_e32 v1, s22
	s_sub_i32 s3, 0, s22
	v_rcp_iflag_f32_e32 v1, v1
	s_nop 0
	v_mul_f32_e32 v1, 0x4f7ffffe, v1
	v_cvt_u32_f32_e32 v1, v1
	s_nop 0
	v_readfirstlane_b32 s17, v1
	s_mul_i32 s3, s3, s17
	s_mul_hi_u32 s3, s17, s3
	s_add_i32 s17, s17, s3
	s_mul_hi_u32 s3, s2, s17
	s_mul_i32 s19, s3, s22
	s_sub_i32 s19, s2, s19
	s_add_i32 s17, s3, 1
	s_waitcnt lgkmcnt(0)
	s_sub_i32 s21, s19, s22
	s_cmp_ge_u32 s19, s22
	s_cselect_b32 s3, s17, s3
	s_cselect_b32 s19, s21, s19
	s_add_i32 s17, s3, 1
	s_cmp_ge_u32 s19, s22
	s_cselect_b32 s24, s17, s3
.LBB0_6:
	s_mul_i32 s3, s16, s15
	s_mul_hi_u32 s15, s16, s14
	s_add_i32 s15, s15, s3
	s_mul_i32 s3, s16, s14
	s_sub_u32 s14, s2, s3
	s_subb_u32 s2, 0, s15
	s_mul_i32 s15, s2, 9
	s_mul_hi_u32 s2, s14, 9
	s_add_i32 s16, s2, s15
	s_load_dwordx2 s[2:3], s[10:11], 0x18
	v_mul_u32_u24_e32 v1, 0x1c72, v0
	s_mul_i32 s10, s14, 9
	v_lshrrev_b32_e32 v50, 16, v1
	s_waitcnt lgkmcnt(0)
	s_mul_i32 s3, s6, s10
	s_mul_i32 s11, s20, s18
	v_mul_lo_u16_e32 v1, 9, v50
	s_add_u32 s3, s11, s3
	s_mul_i32 s2, s2, s24
	v_sub_u16_e32 v2, v0, v1
	v_mov_b32_e32 v3, 0
	s_add_u32 s17, s2, s3
	v_mad_u64_u32 v[20:21], s[2:3], s14, 9, v[2:3]
	s_add_u32 s2, s10, 9
	s_addc_u32 s3, s16, 0
	v_mov_b64_e32 v[4:5], s[12:13]
	v_cmp_le_u64_e32 vcc, s[2:3], v[4:5]
	v_mad_u64_u32 v[4:5], s[2:3], s4, v50, 0
	v_mov_b32_e32 v6, v5
	v_mad_u64_u32 v[6:7], s[2:3], s5, v50, v[6:7]
	v_mov_b32_e32 v5, v6
	v_add_u32_e32 v21, s15, v21
	v_mad_u64_u32 v[14:15], s[2:3], s6, v2, 0
	v_mad_u64_u32 v[4:5], s[2:3], s6, v2, v[4:5]
	v_mul_lo_u32 v1, s7, v2
	v_cmp_gt_u64_e64 s[2:3], s[12:13], v[20:21]
	v_add_u32_e32 v15, v15, v1
	s_or_b64 s[6:7], vcc, s[2:3]
	v_add_u32_e32 v16, s17, v4
	v_mov_b32_e32 v4, 0
	v_mov_b32_e32 v5, 0
	s_and_saveexec_b64 s[2:3], s[6:7]
	s_cbranch_execz .LBB0_8
; %bb.7:
	v_mov_b32_e32 v17, v3
	v_lshl_add_u64 v[4:5], v[16:17], 3, s[8:9]
	global_load_dwordx2 v[4:5], v[4:5], off
.LBB0_8:
	s_or_b64 exec, exec, s[2:3]
	v_and_b32_e32 v52, 0xffff, v50
	v_add_u32_e32 v17, 0x8c, v52
	v_mad_u64_u32 v[6:7], s[2:3], s4, v17, v[14:15]
	v_add_u32_e32 v18, s17, v6
	v_mov_b32_e32 v7, 0
	s_and_saveexec_b64 s[2:3], s[6:7]
	s_cbranch_execz .LBB0_10
; %bb.9:
	v_mov_b32_e32 v19, 0
	v_lshl_add_u64 v[6:7], v[18:19], 3, s[8:9]
	global_load_dwordx2 v[6:7], v[6:7], off
	s_waitcnt vmcnt(0)
	v_mov_b32_e32 v3, v6
.LBB0_10:
	s_or_b64 exec, exec, s[2:3]
	v_add_u32_e32 v1, 28, v52
	v_mov_b32_e32 v10, 0
	v_mov_b32_e32 v8, 0
	;; [unrolled: 1-line block ×3, first 2 shown]
	s_and_saveexec_b64 s[2:3], s[6:7]
	s_cbranch_execz .LBB0_12
; %bb.11:
	v_mul_lo_u32 v6, s4, v1
	v_add3_u32 v8, s17, v14, v6
	v_mov_b32_e32 v9, 0
	v_lshl_add_u64 v[8:9], v[8:9], 3, s[8:9]
	global_load_dwordx2 v[8:9], v[8:9], off
.LBB0_12:
	s_or_b64 exec, exec, s[2:3]
	v_mov_b32_e32 v11, 0
	s_and_saveexec_b64 s[2:3], s[6:7]
	s_cbranch_execz .LBB0_14
; %bb.13:
	v_add_u32_e32 v6, 0xa8, v52
	v_mul_lo_u32 v6, s4, v6
	v_add3_u32 v10, s17, v14, v6
	v_mov_b32_e32 v11, 0
	v_lshl_add_u64 v[10:11], v[10:11], 3, s[8:9]
	global_load_dwordx2 v[10:11], v[10:11], off
.LBB0_14:
	s_or_b64 exec, exec, s[2:3]
	v_add_u32_e32 v15, 56, v52
	v_mov_b32_e32 v22, 0
	v_mov_b32_e32 v12, 0
	;; [unrolled: 1-line block ×3, first 2 shown]
	s_and_saveexec_b64 s[2:3], s[6:7]
	s_cbranch_execz .LBB0_16
; %bb.15:
	v_mul_lo_u32 v6, s4, v15
	v_add3_u32 v12, s17, v14, v6
	v_mov_b32_e32 v13, 0
	v_lshl_add_u64 v[12:13], v[12:13], 3, s[8:9]
	global_load_dwordx2 v[12:13], v[12:13], off
.LBB0_16:
	s_or_b64 exec, exec, s[2:3]
	v_mov_b32_e32 v23, 0
	s_and_saveexec_b64 s[2:3], s[6:7]
	s_cbranch_execz .LBB0_18
; %bb.17:
	v_add_u32_e32 v6, 0xc4, v52
	v_mul_lo_u32 v6, s4, v6
	v_add3_u32 v22, s17, v14, v6
	v_mov_b32_e32 v23, 0
	v_lshl_add_u64 v[22:23], v[22:23], 3, s[8:9]
	global_load_dwordx2 v[22:23], v[22:23], off
.LBB0_18:
	s_or_b64 exec, exec, s[2:3]
	v_add_u32_e32 v21, 0x54, v52
	v_mov_b32_e32 v24, 0
	v_mov_b32_e32 v26, 0
	;; [unrolled: 1-line block ×3, first 2 shown]
	s_and_saveexec_b64 s[2:3], s[6:7]
	s_cbranch_execz .LBB0_20
; %bb.19:
	v_mul_lo_u32 v6, s4, v21
	v_add3_u32 v26, s17, v14, v6
	v_mov_b32_e32 v27, 0
	v_lshl_add_u64 v[26:27], v[26:27], 3, s[8:9]
	global_load_dwordx2 v[26:27], v[26:27], off
.LBB0_20:
	s_or_b64 exec, exec, s[2:3]
	v_mov_b32_e32 v25, 0
	s_and_saveexec_b64 s[2:3], s[6:7]
	s_cbranch_execz .LBB0_22
; %bb.21:
	v_or_b32_e32 v6, 0xe0, v52
	v_mul_lo_u32 v6, s4, v6
	v_add3_u32 v24, s17, v14, v6
	v_mov_b32_e32 v25, 0
	v_lshl_add_u64 v[24:25], v[24:25], 3, s[8:9]
	global_load_dwordx2 v[24:25], v[24:25], off
.LBB0_22:
	s_or_b64 exec, exec, s[2:3]
	v_add_u32_e32 v51, 0x70, v52
	v_mov_b32_e32 v30, 0
	v_mov_b32_e32 v28, 0
	;; [unrolled: 1-line block ×3, first 2 shown]
	s_and_saveexec_b64 s[2:3], s[6:7]
	s_cbranch_execz .LBB0_24
; %bb.23:
	v_mul_lo_u32 v6, s4, v51
	v_add3_u32 v28, s17, v14, v6
	v_mov_b32_e32 v29, 0
	v_lshl_add_u64 v[28:29], v[28:29], 3, s[8:9]
	global_load_dwordx2 v[28:29], v[28:29], off
.LBB0_24:
	s_or_b64 exec, exec, s[2:3]
	s_load_dwordx2 s[2:3], s[0:1], 0x0
	v_mov_b32_e32 v31, 0
	s_and_saveexec_b64 s[10:11], s[6:7]
	s_cbranch_execz .LBB0_26
; %bb.25:
	v_add_u32_e32 v6, 0xfc, v52
	v_mul_lo_u32 v6, s4, v6
	v_add3_u32 v30, s17, v14, v6
	v_mov_b32_e32 v31, 0
	v_lshl_add_u64 v[30:31], v[30:31], 3, s[8:9]
	global_load_dwordx2 v[30:31], v[30:31], off
.LBB0_26:
	s_or_b64 exec, exec, s[10:11]
	v_mov_b32_e32 v6, v3
	s_movk_i32 s5, 0x90
	s_waitcnt vmcnt(0)
	v_pk_add_f32 v[6:7], v[4:5], v[6:7] neg_lo:[0,1] neg_hi:[0,1]
	v_mad_u32_u24 v19, v52, s5, 0
	v_lshlrev_b32_e32 v53, 3, v2
	v_pk_add_f32 v[32:33], v[12:13], v[22:23] neg_lo:[0,1] neg_hi:[0,1]
	v_pk_add_f32 v[22:23], v[26:27], v[24:25] neg_lo:[0,1] neg_hi:[0,1]
	;; [unrolled: 1-line block ×3, first 2 shown]
	v_add_u32_e32 v30, v19, v53
	v_pk_fma_f32 v[2:3], v[4:5], 2.0, v[6:7] op_sel_hi:[1,0,1] neg_lo:[0,0,1] neg_hi:[0,0,1]
	v_pk_add_f32 v[10:11], v[8:9], v[10:11] neg_lo:[0,1] neg_hi:[0,1]
	ds_write2_b64 v30, v[2:3], v[6:7] offset1:9
	v_add_u32_e32 v2, 0xfc0, v19
	v_add_u32_e32 v3, v2, v53
	v_pk_fma_f32 v[4:5], v[8:9], 2.0, v[10:11] op_sel_hi:[1,0,1] neg_lo:[0,0,1] neg_hi:[0,0,1]
	ds_write2_b64 v3, v[4:5], v[10:11] offset1:9
	v_pk_fma_f32 v[4:5], v[12:13], 2.0, v[32:33] op_sel_hi:[1,0,1] neg_lo:[0,0,1] neg_hi:[0,0,1]
	v_add_u32_e32 v6, 0xc00, v3
	s_movk_i32 s5, 0xffb8
	ds_write2_b64 v6, v[4:5], v[32:33] offset0:120 offset1:129
	v_pk_fma_f32 v[4:5], v[26:27], 2.0, v[22:23] op_sel_hi:[1,0,1] neg_lo:[0,0,1] neg_hi:[0,0,1]
	v_add_u32_e32 v6, 0x1800, v3
	v_pk_fma_f32 v[26:27], v[28:29], 2.0, v[24:25] op_sel_hi:[1,0,1] neg_lo:[0,0,1] neg_hi:[0,0,1]
	v_add_u32_e32 v3, 0x2800, v3
	v_mad_i32_i24 v19, v52, s5, v30
	ds_write2_b64 v6, v[4:5], v[22:23] offset0:240 offset1:249
	ds_write2_b64 v3, v[26:27], v[24:25] offset0:232 offset1:241
	s_waitcnt lgkmcnt(0)
	s_barrier
	ds_read_b64 v[36:37], v19
	ds_read_b64 v[42:43], v19 offset:2880
	ds_read_b64 v[38:39], v19 offset:5760
	;; [unrolled: 1-line block ×6, first 2 shown]
	s_movk_i32 s5, 0x6c
	v_cmp_gt_u32_e32 vcc, s5, v0
                                        ; implicit-def: $vgpr29
                                        ; implicit-def: $vgpr32
                                        ; implicit-def: $vgpr34
                                        ; implicit-def: $vgpr30
	s_and_saveexec_b64 s[10:11], vcc
	s_cbranch_execz .LBB0_28
; %bb.27:
	v_mul_i32_i24_e32 v3, 0xffffffb8, v1
	v_add3_u32 v2, v2, v3, v53
	v_add_u32_e32 v3, 0x2800, v19
	ds_read2_b32 v[28:29], v3 offset0:104 offset1:105
	ds_read_b64 v[26:27], v19 offset:4896
	ds_read_b64 v[24:25], v19 offset:7776
	;; [unrolled: 1-line block ×4, first 2 shown]
	ds_read_b64 v[22:23], v2
	ds_read_b64 v[34:35], v19 offset:19296
.LBB0_28:
	s_or_b64 exec, exec, s[10:11]
	v_and_b32_e32 v54, 1, v52
	v_mul_u32_u24_e32 v2, 6, v54
	v_lshlrev_b32_e32 v55, 3, v2
	global_load_dwordx4 v[10:13], v55, s[2:3] offset:16
	global_load_dwordx4 v[2:5], v55, s[2:3]
	global_load_dwordx4 v[6:9], v55, s[2:3] offset:32
	s_waitcnt lgkmcnt(2)
	v_mov_b32_e32 v58, v47
	v_lshrrev_b32_e32 v47, 1, v52
	v_mul_u32_u24_e32 v47, 14, v47
	v_or_b32_e32 v47, v47, v54
	v_mul_u32_u24_e32 v47, 0x48, v47
	v_add3_u32 v47, 0, v47, v53
	v_mov_b32_e32 v56, v49
	v_mov_b32_e32 v57, v48
	;; [unrolled: 1-line block ×5, first 2 shown]
	s_waitcnt lgkmcnt(1)
	v_mov_b32_e32 v64, v45
	s_waitcnt lgkmcnt(0)
	v_mov_b32_e32 v66, v41
	s_mov_b32 s12, 0x3f08b237
	s_mov_b32 s22, 0x3d64c772
	;; [unrolled: 1-line block ×10, first 2 shown]
	s_barrier
	s_mov_b32 s16, 0xbf5ff5aa
	s_mov_b32 s18, 0x3f3bfb3b
	s_waitcnt vmcnt(2)
	v_mov_b32_e32 v68, v11
	v_pk_mul_f32 v[72:73], v[12:13], v[46:47] op_sel_hi:[1,0]
	v_mov_b32_e32 v46, v13
	s_waitcnt vmcnt(1)
	v_pk_mul_f32 v[76:77], v[2:3], v[42:43] op_sel_hi:[1,0]
	v_pk_mul_f32 v[78:79], v[4:5], v[38:39] op_sel_hi:[1,0]
	s_waitcnt vmcnt(0)
	v_pk_mul_f32 v[80:81], v[6:7], v[44:45] op_sel_hi:[1,0]
	v_pk_mul_f32 v[82:83], v[8:9], v[40:41] op_sel_hi:[1,0]
	v_pk_mul_f32 v[48:49], v[10:11], v[48:49] op_sel_hi:[1,0]
	v_pk_mul_f32 v[70:71], v[10:11], v[56:57]
	v_pk_mul_f32 v[74:75], v[12:13], v[58:59]
	;; [unrolled: 1-line block ×4, first 2 shown]
	v_pk_fma_f32 v[60:61], v[2:3], v[60:61], v[76:77] op_sel:[0,0,1] op_sel_hi:[1,1,0] neg_lo:[0,0,1] neg_hi:[0,0,1]
	v_pk_fma_f32 v[42:43], v[2:3], v[42:43], v[76:77] op_sel:[0,1,1] op_sel_hi:[1,1,0]
	v_pk_fma_f32 v[62:63], v[4:5], v[62:63], v[78:79] op_sel:[0,0,1] op_sel_hi:[1,1,0] neg_lo:[0,0,1] neg_hi:[0,0,1]
	v_pk_fma_f32 v[38:39], v[4:5], v[38:39], v[78:79] op_sel:[0,1,1] op_sel_hi:[1,1,0]
	v_pk_fma_f32 v[64:65], v[6:7], v[64:65], v[80:81] op_sel:[0,0,1] op_sel_hi:[1,1,0] neg_lo:[0,0,1] neg_hi:[0,0,1]
	v_pk_fma_f32 v[44:45], v[6:7], v[44:45], v[80:81] op_sel:[0,1,1] op_sel_hi:[1,1,0]
	v_pk_fma_f32 v[66:67], v[8:9], v[66:67], v[82:83] op_sel:[0,0,1] op_sel_hi:[1,1,0] neg_lo:[0,0,1] neg_hi:[0,0,1]
	v_pk_fma_f32 v[40:41], v[8:9], v[40:41], v[82:83] op_sel:[0,1,1] op_sel_hi:[1,1,0]
	v_mov_b32_e32 v70, v71
	v_mov_b32_e32 v74, v75
	;; [unrolled: 1-line block ×10, first 2 shown]
	v_pk_fma_f32 v[56:57], v[10:11], v[56:57], v[70:71] neg_lo:[0,0,1] neg_hi:[0,0,1]
	v_pk_fma_f32 v[58:59], v[12:13], v[58:59], v[74:75] neg_lo:[0,0,1] neg_hi:[0,0,1]
	v_pk_add_f32 v[38:39], v[60:61], v[66:67]
	v_pk_add_f32 v[40:41], v[60:61], v[66:67] neg_lo:[0,1] neg_hi:[0,1]
	v_pk_add_f32 v[42:43], v[62:63], v[64:65]
	v_pk_add_f32 v[60:61], v[72:73], v[84:85]
	;; [unrolled: 1-line block ×3, first 2 shown]
	v_pk_add_f32 v[44:45], v[62:63], v[64:65] neg_lo:[0,1] neg_hi:[0,1]
	v_mov_b32_e32 v63, v56
	v_mov_b32_e32 v65, v58
	;; [unrolled: 1-line block ×6, first 2 shown]
	v_pk_add_f32 v[74:75], v[48:49], v[60:61]
	v_pk_add_f32 v[56:57], v[58:59], v[56:57] neg_lo:[0,1] neg_hi:[0,1]
	v_pk_add_f32 v[58:59], v[62:63], v[64:65]
	v_mov_b32_e32 v67, v41
	v_mov_b32_e32 v68, v44
	;; [unrolled: 1-line block ×11, first 2 shown]
	v_pk_add_f32 v[62:63], v[66:67], v[68:69] neg_lo:[0,1] neg_hi:[0,1]
	v_pk_add_f32 v[64:65], v[70:71], v[72:73] neg_lo:[0,1] neg_hi:[0,1]
	;; [unrolled: 1-line block ×3, first 2 shown]
	v_mov_b32_e32 v70, v39
	v_mov_b32_e32 v71, v59
	;; [unrolled: 1-line block ×3, first 2 shown]
	v_pk_add_f32 v[58:59], v[58:59], v[74:75]
	v_pk_add_f32 v[56:57], v[56:57], v[44:45]
	v_pk_mul_f32 v[62:63], v[62:63], s[12:13]
	v_pk_add_f32 v[70:71], v[70:71], v[48:49] neg_lo:[0,1] neg_hi:[0,1]
	v_pk_add_f32 v[36:37], v[58:59], v[36:37]
	v_pk_mul_f32 v[66:67], v[66:67], s[22:23]
	v_pk_add_f32 v[56:57], v[56:57], v[40:41]
	v_pk_mul_f32 v[68:69], v[64:65], s[14:15]
	v_pk_mul_f32 v[72:73], v[70:71], s[24:25]
	v_pk_fma_f32 v[58:59], v[58:59], s[20:21], v[36:37] op_sel_hi:[1,0,1]
	v_pk_fma_f32 v[70:71], v[70:71], s[24:25], v[66:67]
	v_pk_fma_f32 v[64:65], v[64:65], s[14:15], v[62:63]
	v_pk_add_f32 v[70:71], v[70:71], v[58:59]
	v_pk_fma_f32 v[64:65], v[56:57], s[10:11], v[64:65] op_sel_hi:[1,0,1]
	v_mov_b32_e32 v48, v43
	v_pk_add_f32 v[74:75], v[70:71], v[64:65]
	v_pk_add_f32 v[64:65], v[70:71], v[64:65] neg_lo:[0,1] neg_hi:[0,1]
	v_mov_b32_e32 v70, v74
	v_mov_b32_e32 v71, v65
	;; [unrolled: 1-line block ×3, first 2 shown]
	ds_write2_b64 v47, v[36:37], v[70:71] offset1:18
	v_pk_add_f32 v[36:37], v[44:45], v[40:41] neg_lo:[0,1] neg_hi:[0,1]
	v_pk_add_f32 v[38:39], v[48:49], v[60:61] neg_lo:[0,1] neg_hi:[0,1]
	v_mov_b32_e32 v40, v72
	v_mov_b32_e32 v41, v67
	;; [unrolled: 1-line block ×6, first 2 shown]
	v_pk_fma_f32 v[40:41], v[38:39], s[18:19], v[40:41] op_sel_hi:[1,0,1] neg_lo:[1,0,1] neg_hi:[1,0,1]
	v_pk_fma_f32 v[42:43], v[36:37], s[16:17], v[42:43] op_sel_hi:[1,0,1] neg_lo:[1,0,1] neg_hi:[1,0,1]
	;; [unrolled: 1-line block ×4, first 2 shown]
	v_pk_add_f32 v[40:41], v[40:41], v[58:59]
	v_pk_fma_f32 v[42:43], v[56:57], s[10:11], v[42:43] op_sel_hi:[1,0,1]
	v_pk_add_f32 v[38:39], v[38:39], v[58:59]
	v_pk_fma_f32 v[36:37], v[56:57], s[10:11], v[36:37] op_sel_hi:[1,0,1]
	v_pk_add_f32 v[44:45], v[40:41], v[42:43]
	v_pk_add_f32 v[40:41], v[40:41], v[42:43] neg_lo:[0,1] neg_hi:[0,1]
	v_pk_add_f32 v[48:49], v[38:39], v[36:37] neg_lo:[0,1] neg_hi:[0,1]
	v_pk_add_f32 v[36:37], v[38:39], v[36:37]
	v_mov_b32_e32 v42, v44
	v_mov_b32_e32 v43, v41
	;; [unrolled: 1-line block ×7, first 2 shown]
	ds_write2_b64 v47, v[42:43], v[38:39] offset0:36 offset1:54
	ds_write2_b64 v47, v[36:37], v[40:41] offset0:72 offset1:90
	ds_write_b64 v47, v[64:65] offset:864
	s_and_saveexec_b64 s[26:27], vcc
	s_cbranch_execz .LBB0_30
; %bb.29:
	v_mov_b32_e32 v36, v33
	v_mov_b32_e32 v37, v32
	v_mul_f32_e32 v48, v29, v11
	v_mul_f32_e32 v11, v28, v11
	v_pk_mul_f32 v[44:45], v[36:37], v[46:47]
	v_mul_f32_e32 v46, v28, v10
	v_fma_f32 v10, v29, v10, -v11
	v_pk_mul_f32 v[28:29], v[36:37], v[12:13]
	v_pk_mul_f32 v[42:43], v[34:35], v[8:9] op_sel_hi:[0,1]
	v_mov_b32_e32 v34, v35
	v_mov_b32_e32 v28, v29
	v_pk_mul_f32 v[38:39], v[26:27], v[2:3] op_sel_hi:[0,1]
	v_mov_b32_e32 v26, v27
	v_mov_b32_e32 v40, v27
	v_pk_mul_f32 v[32:33], v[32:33], v[12:13]
	v_pk_fma_f32 v[12:13], v[36:37], v[12:13], v[28:29] neg_lo:[0,0,1] neg_hi:[0,0,1]
	v_pk_fma_f32 v[28:29], v[34:35], v[8:9], v[42:43] op_sel:[0,0,1] op_sel_hi:[0,1,0] neg_lo:[0,0,1] neg_hi:[0,0,1]
	v_pk_fma_f32 v[8:9], v[34:35], v[8:9], v[42:43] op_sel:[0,0,1] op_sel_hi:[0,1,0]
	v_pk_mul_f32 v[60:61], v[30:31], v[6:7] op_sel_hi:[0,1]
	v_mov_b32_e32 v30, v31
	v_mov_b32_e32 v29, v9
	v_pk_fma_f32 v[8:9], v[26:27], v[2:3], v[38:39] op_sel:[0,0,1] op_sel_hi:[1,1,0] neg_lo:[0,0,1] neg_hi:[0,0,1]
	v_pk_fma_f32 v[2:3], v[40:41], v[2:3], v[38:39] op_sel:[0,0,1] op_sel_hi:[0,1,0]
	v_pk_mul_f32 v[56:57], v[24:25], v[4:5] op_sel_hi:[0,1]
	v_mov_b32_e32 v24, v25
	v_mov_b32_e32 v58, v25
	v_lshrrev_b32_e32 v11, 1, v1
	v_mov_b32_e32 v9, v3
	v_pk_fma_f32 v[2:3], v[30:31], v[6:7], v[60:61] op_sel:[0,0,1] op_sel_hi:[0,1,0] neg_lo:[0,0,1] neg_hi:[0,0,1]
	v_pk_fma_f32 v[6:7], v[30:31], v[6:7], v[60:61] op_sel:[0,0,1] op_sel_hi:[0,1,0]
	v_mul_u32_u24_e32 v11, 14, v11
	v_mov_b32_e32 v3, v7
	v_pk_fma_f32 v[6:7], v[24:25], v[4:5], v[56:57] op_sel:[0,0,1] op_sel_hi:[1,1,0] neg_lo:[0,0,1] neg_hi:[0,0,1]
	v_pk_fma_f32 v[4:5], v[58:59], v[4:5], v[56:57] op_sel:[0,0,1] op_sel_hi:[0,1,0]
	v_or_b32_e32 v11, v11, v54
	v_mov_b32_e32 v7, v5
	v_mov_b32_e32 v33, v8
	;; [unrolled: 1-line block ×5, first 2 shown]
	v_mul_u32_u24_e32 v11, 0x48, v11
	v_pk_add_f32 v[4:5], v[8:9], v[28:29]
	v_pk_add_f32 v[24:25], v[6:7], v[2:3]
	v_pk_add_f32 v[26:27], v[8:9], v[28:29] neg_lo:[0,1] neg_hi:[0,1]
	v_pk_add_f32 v[30:31], v[6:7], v[2:3] neg_lo:[0,1] neg_hi:[0,1]
	v_pk_add_f32 v[8:9], v[32:33], v[44:45]
	v_pk_add_f32 v[2:3], v[46:47], v[48:49]
	v_add3_u32 v54, 0, v11, v53
	v_mov_b32_e32 v13, v8
	v_mov_b32_e32 v11, v2
	v_pk_add_f32 v[6:7], v[12:13], v[10:11] neg_lo:[0,1] neg_hi:[0,1]
	v_mov_b32_e32 v37, v27
	v_mov_b32_e32 v32, v6
	v_pk_add_f32 v[34:35], v[6:7], v[30:31]
	v_mov_b32_e32 v36, v6
	v_mov_b32_e32 v6, v30
	;; [unrolled: 1-line block ×3, first 2 shown]
	v_pk_add_f32 v[6:7], v[36:37], v[6:7] neg_lo:[0,1] neg_hi:[0,1]
	v_mov_b32_e32 v36, v25
	v_mov_b32_e32 v37, v10
	v_mov_b32_e32 v10, v5
	v_mov_b32_e32 v11, v12
	v_pk_add_f32 v[10:11], v[36:37], v[10:11]
	v_pk_add_f32 v[12:13], v[2:3], v[8:9]
	v_mov_b32_e32 v28, v26
	v_pk_add_f32 v[36:37], v[10:11], v[12:13]
	v_mov_b32_e32 v10, v5
	v_mov_b32_e32 v13, v3
	v_pk_add_f32 v[38:39], v[10:11], v[12:13] neg_lo:[0,1] neg_hi:[0,1]
	v_mov_b32_e32 v13, v9
	v_mov_b32_e32 v10, v25
	;; [unrolled: 1-line block ×3, first 2 shown]
	v_pk_add_f32 v[10:11], v[12:13], v[10:11] neg_lo:[0,1] neg_hi:[0,1]
	v_pk_add_f32 v[28:29], v[28:29], v[32:33] neg_lo:[0,1] neg_hi:[0,1]
	v_pk_mul_f32 v[6:7], v[6:7], s[12:13]
	v_pk_add_f32 v[22:23], v[22:23], v[36:37]
	v_pk_mul_f32 v[10:11], v[10:11], s[22:23]
	v_pk_mul_f32 v[32:33], v[28:29], s[14:15]
	v_pk_add_f32 v[34:35], v[34:35], v[26:27]
	v_pk_fma_f32 v[28:29], v[28:29], s[14:15], v[6:7]
	v_pk_fma_f32 v[12:13], v[38:39], s[24:25], v[10:11]
	v_pk_fma_f32 v[36:37], v[36:37], s[20:21], v[22:23] op_sel_hi:[1,0,1]
	v_pk_fma_f32 v[28:29], v[34:35], s[10:11], v[28:29] op_sel_hi:[1,0,1]
	v_pk_add_f32 v[12:13], v[12:13], v[36:37]
	v_pk_mul_f32 v[40:41], v[38:39], s[24:25]
	v_pk_add_f32 v[38:39], v[12:13], v[28:29]
	v_pk_add_f32 v[12:13], v[12:13], v[28:29] neg_lo:[0,1] neg_hi:[0,1]
	v_mov_b32_e32 v28, v38
	v_mov_b32_e32 v29, v13
	;; [unrolled: 1-line block ×4, first 2 shown]
	ds_write2_b64 v54, v[22:23], v[28:29] offset1:18
	v_pk_add_f32 v[22:23], v[30:31], v[26:27] neg_lo:[0,1] neg_hi:[0,1]
	v_mov_b32_e32 v26, v32
	v_mov_b32_e32 v27, v7
	v_pk_add_f32 v[2:3], v[2:3], v[8:9] neg_lo:[0,1] neg_hi:[0,1]
	v_mov_b32_e32 v4, v40
	v_mov_b32_e32 v5, v11
	;; [unrolled: 1-line block ×4, first 2 shown]
	v_pk_fma_f32 v[26:27], v[22:23], s[16:17], v[26:27] op_sel_hi:[1,0,1] neg_lo:[1,0,1] neg_hi:[1,0,1]
	v_pk_fma_f32 v[4:5], v[2:3], s[18:19], v[4:5] op_sel_hi:[1,0,1] neg_lo:[1,0,1] neg_hi:[1,0,1]
	v_pk_fma_f32 v[6:7], v[22:23], s[16:17], v[6:7] op_sel_hi:[1,0,1] neg_lo:[0,0,1] neg_hi:[0,0,1]
	v_pk_fma_f32 v[2:3], v[2:3], s[18:19], v[10:11] op_sel_hi:[1,0,1] neg_lo:[0,0,1] neg_hi:[0,0,1]
	v_pk_fma_f32 v[26:27], v[34:35], s[10:11], v[26:27] op_sel_hi:[1,0,1]
	v_pk_add_f32 v[4:5], v[4:5], v[36:37]
	v_pk_fma_f32 v[6:7], v[34:35], s[10:11], v[6:7] op_sel_hi:[1,0,1]
	v_pk_add_f32 v[2:3], v[2:3], v[36:37]
	v_pk_add_f32 v[8:9], v[4:5], v[26:27]
	v_pk_add_f32 v[4:5], v[4:5], v[26:27] neg_lo:[0,1] neg_hi:[0,1]
	v_pk_add_f32 v[10:11], v[2:3], v[6:7] neg_lo:[0,1] neg_hi:[0,1]
	v_pk_add_f32 v[2:3], v[2:3], v[6:7]
	v_mov_b32_e32 v24, v8
	v_mov_b32_e32 v25, v5
	;; [unrolled: 1-line block ×7, first 2 shown]
	ds_write2_b64 v54, v[24:25], v[6:7] offset0:36 offset1:54
	ds_write2_b64 v54, v[2:3], v[4:5] offset0:72 offset1:90
	ds_write_b64 v54, v[12:13] offset:864
.LBB0_30:
	s_or_b64 exec, exec, s[26:27]
	v_mul_lo_u16_e32 v2, 37, v52
	v_lshrrev_b16_e32 v56, 9, v2
	v_mul_lo_u16_e32 v2, 14, v56
	v_sub_u16_e32 v2, v52, v2
	v_and_b32_e32 v57, 0xff, v2
	v_mul_u32_u24_e32 v2, 9, v57
	v_lshlrev_b32_e32 v26, 3, v2
	s_waitcnt lgkmcnt(0)
	s_barrier
	global_load_dwordx4 v[2:5], v26, s[2:3] offset:96
	global_load_dwordx4 v[6:9], v26, s[2:3] offset:112
	;; [unrolled: 1-line block ×4, first 2 shown]
	global_load_dwordx2 v[30:31], v26, s[2:3] offset:160
	v_mul_u32_u24_e32 v26, 0x48, v1
	v_add3_u32 v34, 0, v26, v53
	v_add_u32_e32 v32, 0x2760, v19
	v_add_u32_e32 v35, 0xfc0, v34
	;; [unrolled: 1-line block ×3, first 2 shown]
	ds_read_b64 v[48:49], v19
	ds_read_b64 v[54:55], v19 offset:18144
	ds_read2_b64 v[26:29], v32 offset1:252
	ds_read2_b64 v[36:39], v33 offset1:252
	;; [unrolled: 1-line block ×4, first 2 shown]
	s_movk_i32 s5, 0x8c
	v_mad_u32_u24 v56, v56, s5, v57
	v_mul_u32_u24_e32 v56, 0x48, v56
	v_add3_u32 v53, 0, v56, v53
	s_mov_b32 s10, 0x3e9e377a
	s_mov_b32 s11, 0x3f167918
	;; [unrolled: 1-line block ×8, first 2 shown]
	s_waitcnt lgkmcnt(0)
	s_barrier
	s_waitcnt vmcnt(4)
	v_pk_mul_f32 v[56:57], v[2:3], v[40:41] op_sel:[0,1]
	v_pk_mul_f32 v[58:59], v[4:5], v[42:43] op_sel:[0,1]
	s_waitcnt vmcnt(3)
	v_pk_mul_f32 v[60:61], v[6:7], v[44:45] op_sel:[0,1]
	v_pk_mul_f32 v[62:63], v[8:9], v[46:47] op_sel:[0,1]
	s_waitcnt vmcnt(2)
	v_pk_mul_f32 v[64:65], v[10:11], v[26:27] op_sel:[0,1]
	v_mov_b32_e32 v66, v13
	s_waitcnt vmcnt(1)
	v_pk_mul_f32 v[68:69], v[36:37], v[22:23] op_sel:[0,1]
	s_waitcnt vmcnt(0)
	v_pk_mul_f32 v[72:73], v[54:55], v[30:31] op_sel:[0,1]
	v_pk_fma_f32 v[74:75], v[2:3], v[40:41], v[56:57] op_sel:[0,0,1] op_sel_hi:[1,0,0]
	v_pk_fma_f32 v[2:3], v[2:3], v[40:41], v[56:57] op_sel:[0,0,1] op_sel_hi:[1,0,0] neg_lo:[1,0,0] neg_hi:[1,0,0]
	v_pk_fma_f32 v[40:41], v[4:5], v[42:43], v[58:59] op_sel:[0,0,1] op_sel_hi:[1,1,0]
	v_pk_fma_f32 v[4:5], v[4:5], v[42:43], v[58:59] op_sel:[0,0,1] op_sel_hi:[1,0,0] neg_lo:[1,0,0] neg_hi:[1,0,0]
	;; [unrolled: 2-line block ×5, first 2 shown]
	v_pk_mul_f32 v[26:27], v[28:29], v[66:67] op_sel_hi:[1,0]
	v_pk_fma_f32 v[56:57], v[36:37], v[22:23], v[68:69] op_sel:[0,0,1] op_sel_hi:[1,1,0]
	v_pk_fma_f32 v[58:59], v[54:55], v[30:31], v[72:73] op_sel:[0,0,1] op_sel_hi:[1,1,0]
	v_mov_b32_e32 v70, v25
	v_mov_b32_e32 v41, v5
	;; [unrolled: 1-line block ×3, first 2 shown]
	v_pk_fma_f32 v[4:5], v[28:29], v[12:13], v[26:27] op_sel:[0,0,1] op_sel_hi:[1,1,0]
	v_pk_fma_f32 v[8:9], v[28:29], v[12:13], v[26:27] op_sel:[0,0,1] op_sel_hi:[1,0,0] neg_lo:[0,0,1] neg_hi:[0,0,1]
	v_mov_b32_e32 v26, v42
	v_mov_b32_e32 v27, v58
	;; [unrolled: 1-line block ×4, first 2 shown]
	v_pk_fma_f32 v[22:23], v[36:37], v[22:23], v[68:69] op_sel:[0,0,1] op_sel_hi:[1,0,0] neg_lo:[0,0,1] neg_hi:[0,0,1]
	v_pk_mul_f32 v[36:37], v[38:39], v[70:71] op_sel_hi:[1,0]
	v_pk_fma_f32 v[30:31], v[54:55], v[30:31], v[72:73] op_sel:[0,0,1] op_sel_hi:[1,0,0] neg_lo:[0,0,1] neg_hi:[0,0,1]
	v_pk_add_f32 v[54:55], v[26:27], v[28:29] neg_lo:[0,1] neg_hi:[0,1]
	v_mov_b32_e32 v47, v11
	v_mov_b32_e32 v57, v23
	v_pk_fma_f32 v[12:13], v[38:39], v[24:25], v[36:37] op_sel:[0,0,1] op_sel_hi:[1,1,0]
	v_pk_fma_f32 v[24:25], v[38:39], v[24:25], v[36:37] op_sel:[0,0,1] op_sel_hi:[1,0,0] neg_lo:[0,0,1] neg_hi:[0,0,1]
	v_mov_b32_e32 v2, v55
	v_mov_b32_e32 v43, v7
	v_mov_b32_e32 v59, v31
	v_mov_b32_e32 v13, v25
	v_pk_add_f32 v[24:25], v[46:47], v[56:57]
	v_pk_add_f32 v[38:39], v[46:47], v[56:57] neg_lo:[0,1] neg_hi:[0,1]
	v_pk_add_f32 v[54:55], v[54:55], v[2:3]
	v_pk_add_f32 v[36:37], v[42:43], v[58:59] neg_lo:[0,1] neg_hi:[0,1]
	v_fma_f32 v6, -0.5, v24, v74
	v_mov_b32_e32 v55, v39
	v_fmamk_f32 v10, v37, 0xbf737871, v6
	v_pk_mul_f32 v[54:55], v[54:55], s[10:11]
	v_pk_add_f32 v[26:27], v[28:29], v[26:27] neg_lo:[0,1] neg_hi:[0,1]
	v_sub_f32_e32 v2, v10, v55
	v_mov_b32_e32 v10, v27
	v_mov_b32_e32 v22, v74
	v_pk_add_f32 v[60:61], v[42:43], v[58:59]
	v_pk_add_f32 v[26:27], v[26:27], v[10:11]
	v_fmac_f32_e32 v22, -0.5, v60
	v_mov_b32_e32 v27, v37
	v_fmamk_f32 v24, v39, 0x3f737871, v22
	v_pk_mul_f32 v[26:27], v[26:27], s[10:11]
	v_fmac_f32_e32 v22, 0xbf737871, v39
	v_add_f32_e32 v22, v27, v22
	v_sub_f32_e32 v10, v24, v27
	v_add_f32_e32 v24, v26, v22
	v_mov_b32_e32 v30, v7
	v_mov_b32_e32 v22, v11
	;; [unrolled: 1-line block ×3, first 2 shown]
	v_pk_add_f32 v[28:29], v[30:31], v[22:23] neg_lo:[0,1] neg_hi:[0,1]
	v_add_f32_e32 v10, v26, v10
	v_pk_add_f32 v[26:27], v[74:75], v[42:43]
	v_mov_b32_e32 v42, v29
	v_pk_add_f32 v[28:29], v[28:29], v[42:43]
	v_fma_f32 v25, -0.5, v25, v3
	v_mov_b32_e32 v29, v38
	v_fmac_f32_e32 v6, 0x3f737871, v37
	v_fmamk_f32 v37, v36, 0x3f737871, v25
	v_pk_mul_f32 v[28:29], v[28:29], s[10:11]
	v_fmac_f32_e32 v25, 0xbf737871, v36
	v_add_f32_e32 v7, v29, v37
	v_pk_add_f32 v[22:23], v[22:23], v[30:31] neg_lo:[0,1] neg_hi:[0,1]
	v_mov_b32_e32 v5, v9
	v_add_f32_e32 v42, v28, v7
	v_sub_f32_e32 v7, v25, v29
	v_fmac_f32_e32 v3, -0.5, v61
	v_mov_b32_e32 v30, v23
	v_add_f32_e32 v6, v55, v6
	v_pk_add_f32 v[26:27], v[26:27], v[46:47]
	v_add_f32_e32 v28, v28, v7
	v_fmamk_f32 v7, v38, 0xbf737871, v3
	v_pk_add_f32 v[22:23], v[22:23], v[30:31]
	v_fmac_f32_e32 v3, 0x3f737871, v38
	v_pk_add_f32 v[38:39], v[44:45], v[4:5]
	v_pk_add_f32 v[46:47], v[40:41], v[12:13] neg_lo:[0,1] neg_hi:[0,1]
	v_add_f32_e32 v2, v54, v2
	v_add_f32_e32 v6, v54, v6
	v_pk_add_f32 v[26:27], v[26:27], v[56:57]
	v_mov_b32_e32 v23, v36
	v_pk_fma_f32 v[38:39], v[38:39], 0.5, v[48:49] op_sel_hi:[1,0,1] neg_lo:[1,0,0] neg_hi:[1,0,0]
	v_pk_mul_f32 v[54:55], v[46:47], s[12:13] op_sel_hi:[1,0]
	v_pk_add_f32 v[56:57], v[44:45], v[4:5] neg_lo:[0,1] neg_hi:[0,1]
	v_pk_add_f32 v[60:61], v[40:41], v[44:45] neg_lo:[0,1] neg_hi:[0,1]
	;; [unrolled: 1-line block ×3, first 2 shown]
	v_pk_add_f32 v[8:9], v[48:49], v[40:41]
	v_pk_add_f32 v[26:27], v[26:27], v[58:59]
	v_pk_mul_f32 v[22:23], v[22:23], s[10:11]
	v_pk_mul_f32 v[58:59], v[56:57], s[14:15] op_sel_hi:[1,0]
	v_pk_add_f32 v[60:61], v[60:61], v[62:63]
	v_pk_add_f32 v[62:63], v[38:39], v[54:55] op_sel:[0,1] op_sel_hi:[1,0] neg_lo:[0,1] neg_hi:[0,1]
	v_pk_add_f32 v[38:39], v[38:39], v[54:55] op_sel:[0,1] op_sel_hi:[1,0]
	v_pk_add_f32 v[8:9], v[8:9], v[44:45]
	v_add_f32_e32 v7, v23, v7
	v_sub_f32_e32 v3, v3, v23
	v_pk_add_f32 v[38:39], v[38:39], v[58:59] op_sel:[0,1] op_sel_hi:[1,0]
	v_pk_add_f32 v[54:55], v[62:63], v[58:59] op_sel:[0,1] op_sel_hi:[1,0] neg_lo:[0,1] neg_hi:[0,1]
	v_pk_mul_f32 v[42:43], v[42:43], s[20:21] op_sel_hi:[0,1]
	v_pk_add_f32 v[8:9], v[8:9], v[4:5]
	v_add_f32_e32 v30, v22, v7
	v_add_f32_e32 v22, v22, v3
	v_mov_b32_e32 v58, v54
	v_mov_b32_e32 v59, v39
	v_pk_fma_f32 v[62:63], v[2:3], s[18:19], v[42:43] neg_lo:[0,0,1] neg_hi:[0,0,1]
	v_pk_fma_f32 v[2:3], v[2:3], s[18:19], v[42:43] op_sel_hi:[0,1,1]
	v_pk_add_f32 v[8:9], v[8:9], v[12:13]
	v_pk_fma_f32 v[58:59], v[60:61], s[10:11], v[58:59] op_sel_hi:[1,0,1]
	v_mov_b32_e32 v63, v3
	v_pk_add_f32 v[36:37], v[8:9], v[26:27]
	v_pk_add_f32 v[2:3], v[58:59], v[62:63]
	s_mov_b32 s13, s10
	ds_write2_b64 v53, v[36:37], v[2:3] offset1:126
	v_pk_add_f32 v[2:3], v[40:41], v[12:13]
	v_pk_add_f32 v[4:5], v[4:5], v[12:13] neg_lo:[0,1] neg_hi:[0,1]
	s_mov_b32 s18, s10
	s_mov_b32 s19, s12
	v_pk_mul_f32 v[12:13], v[30:31], s[12:13] op_sel_hi:[0,1]
	v_pk_fma_f32 v[30:31], v[10:11], s[18:19], v[12:13] neg_lo:[0,0,1] neg_hi:[0,0,1]
	v_pk_fma_f32 v[10:11], v[10:11], s[18:19], v[12:13] op_sel_hi:[0,1,1]
	v_pk_fma_f32 v[2:3], v[2:3], 0.5, v[48:49] op_sel_hi:[1,0,1] neg_lo:[1,0,0] neg_hi:[1,0,0]
	v_pk_add_f32 v[36:37], v[44:45], v[40:41] neg_lo:[0,1] neg_hi:[0,1]
	v_mov_b32_e32 v31, v11
	v_pk_mul_f32 v[10:11], v[56:57], s[12:13] op_sel_hi:[1,0]
	v_pk_add_f32 v[4:5], v[36:37], v[4:5]
	v_pk_mul_f32 v[12:13], v[46:47], s[14:15] op_sel_hi:[1,0]
	v_pk_add_f32 v[36:37], v[2:3], v[10:11] op_sel:[0,1] op_sel_hi:[1,0]
	v_pk_add_f32 v[2:3], v[2:3], v[10:11] op_sel:[0,1] op_sel_hi:[1,0] neg_lo:[0,1] neg_hi:[0,1]
	v_pk_add_f32 v[10:11], v[36:37], v[12:13] op_sel:[0,1] op_sel_hi:[1,0] neg_lo:[0,1] neg_hi:[0,1]
	v_pk_add_f32 v[2:3], v[2:3], v[12:13] op_sel:[0,1] op_sel_hi:[1,0]
	v_mov_b32_e32 v12, v10
	v_mov_b32_e32 v13, v3
	s_mov_b32 s14, 0xbe9e377a
	s_mov_b32 s15, s12
	v_pk_mul_f32 v[22:23], v[22:23], s[12:13] op_sel_hi:[0,1]
	v_mov_b32_e32 v3, v11
	v_pk_fma_f32 v[12:13], v[4:5], s[10:11], v[12:13] op_sel_hi:[1,0,1]
	v_pk_fma_f32 v[22:23], v[24:25], s[14:15], v[22:23] op_sel_hi:[0,1,1] neg_lo:[0,0,1] neg_hi:[0,0,1]
	v_pk_fma_f32 v[2:3], v[4:5], s[10:11], v[2:3] op_sel_hi:[1,0,1]
	v_pk_add_f32 v[36:37], v[12:13], v[30:31]
	v_pk_add_f32 v[4:5], v[2:3], v[22:23]
	v_add_u32_e32 v7, 0x400, v53
	ds_write2_b64 v7, v[36:37], v[4:5] offset0:124 offset1:250
	s_mov_b32 s12, 0xbf4f1bbd
	s_mov_b32 s13, s11
	v_pk_mul_f32 v[4:5], v[28:29], s[20:21] op_sel_hi:[0,1]
	v_mov_b32_e32 v39, v55
	v_pk_fma_f32 v[4:5], v[6:7], s[12:13], v[4:5] op_sel_hi:[0,1,1] neg_lo:[0,0,1] neg_hi:[0,0,1]
	v_pk_fma_f32 v[6:7], v[60:61], s[10:11], v[38:39] op_sel_hi:[1,0,1]
	v_pk_add_f32 v[8:9], v[8:9], v[26:27] neg_lo:[0,1] neg_hi:[0,1]
	v_pk_add_f32 v[10:11], v[6:7], v[4:5]
	v_add_u32_e32 v24, 0xc00, v53
	ds_write2_b64 v24, v[10:11], v[8:9] offset0:120 offset1:246
	v_pk_add_f32 v[8:9], v[58:59], v[62:63] neg_lo:[0,1] neg_hi:[0,1]
	v_pk_add_f32 v[10:11], v[12:13], v[30:31] neg_lo:[0,1] neg_hi:[0,1]
	v_add_u32_e32 v12, 0x1400, v53
	v_pk_add_f32 v[2:3], v[2:3], v[22:23] neg_lo:[0,1] neg_hi:[0,1]
	v_pk_add_f32 v[4:5], v[6:7], v[4:5] neg_lo:[0,1] neg_hi:[0,1]
	v_add_u32_e32 v6, 0x1c00, v53
	ds_write2_b64 v12, v[8:9], v[10:11] offset0:116 offset1:242
	ds_write2_b64 v6, v[2:3], v[4:5] offset0:112 offset1:238
	s_waitcnt lgkmcnt(0)
	s_barrier
	s_and_saveexec_b64 s[10:11], s[6:7]
	s_cbranch_execz .LBB0_32
; %bb.31:
	s_movk_i32 s5, 0xfc
	v_subrev_u32_e32 v2, 28, v52
	v_cmp_gt_u32_e32 vcc, s5, v0
	v_mov_b32_e32 v3, 0
	s_load_dwordx2 s[0:1], s[0:1], 0x8
	v_cndmask_b32_e32 v2, v2, v51, vcc
	v_lshl_add_u64 v[4:5], v[2:3], 3, s[2:3]
	global_load_dwordx2 v[6:7], v[4:5], off offset:1104
	v_add_u32_e32 v4, 0x8c, v2
	v_mul_lo_u32 v4, v20, v4
	v_mov_b32_e32 v72, 3
	v_lshlrev_b32_sdwa v5, v72, v4 dst_sel:DWORD dst_unused:UNUSED_PAD src0_sel:DWORD src1_sel:BYTE_0
	v_lshlrev_b32_sdwa v4, v72, v4 dst_sel:DWORD dst_unused:UNUSED_PAD src0_sel:DWORD src1_sel:BYTE_1
	v_mul_lo_u32 v8, v20, v2
	s_movk_i32 s5, 0x1f8
	v_lshlrev_b32_sdwa v24, v72, v8 dst_sel:DWORD dst_unused:UNUSED_PAD src0_sel:DWORD src1_sel:BYTE_0
	v_lshlrev_b32_sdwa v25, v72, v8 dst_sel:DWORD dst_unused:UNUSED_PAD src0_sel:DWORD src1_sel:BYTE_1
	s_waitcnt lgkmcnt(0)
	global_load_dwordx2 v[8:9], v5, s[0:1]
	global_load_dwordx2 v[10:11], v4, s[0:1] offset:2048
	global_load_dwordx2 v[12:13], v24, s[0:1]
	global_load_dwordx2 v[22:23], v25, s[0:1] offset:2048
	v_subrev_u32_e32 v4, 56, v52
	v_cmp_gt_u32_e32 vcc, s5, v0
	s_movk_i32 s5, 0x2f4
	v_add_u32_e32 v40, 0xffffffac, v52
	v_cndmask_b32_e32 v4, v4, v21, vcc
	v_add_u32_e32 v5, 0x8c, v4
	v_mul_lo_u32 v24, v20, v4
	v_mul_lo_u32 v5, v20, v5
	v_lshlrev_b32_sdwa v36, v72, v24 dst_sel:DWORD dst_unused:UNUSED_PAD src0_sel:DWORD src1_sel:BYTE_0
	v_lshlrev_b32_sdwa v37, v72, v24 dst_sel:DWORD dst_unused:UNUSED_PAD src0_sel:DWORD src1_sel:BYTE_1
	v_lshlrev_b32_sdwa v38, v72, v5 dst_sel:DWORD dst_unused:UNUSED_PAD src0_sel:DWORD src1_sel:BYTE_0
	v_lshlrev_b32_sdwa v5, v72, v5 dst_sel:DWORD dst_unused:UNUSED_PAD src0_sel:DWORD src1_sel:BYTE_1
	global_load_dwordx2 v[24:25], v36, s[0:1]
	global_load_dwordx2 v[26:27], v37, s[0:1] offset:2048
	global_load_dwordx2 v[28:29], v5, s[0:1] offset:2048
	global_load_dwordx2 v[30:31], v38, s[0:1]
	v_add_u32_e32 v5, 0x17a0, v34
	ds_read_b64 v[36:37], v5
	v_mov_b32_e32 v5, v3
	v_lshl_add_u64 v[38:39], v[4:5], 3, s[2:3]
	global_load_dwordx2 v[38:39], v[38:39], off offset:1104
	v_add_u32_e32 v44, 0x7e0, v34
	v_cmp_gt_u32_e32 vcc, s5, v0
	v_mov_b32_e32 v41, v3
	ds_read_b64 v[44:45], v44
	ds_read_b64 v[46:47], v19 offset:18144
	ds_read_b64 v[48:49], v19
	v_cndmask_b32_e32 v40, v40, v15, vcc
	s_movk_i32 s6, 0x3f0
	v_add_u32_e32 v42, 0xffffff90, v52
	v_lshl_add_u64 v[52:53], v[40:41], 3, s[2:3]
	v_cmp_gt_u32_e32 vcc, s6, v0
	v_add_u32_e32 v0, 0x8c, v40
	global_load_dwordx2 v[52:53], v[52:53], off offset:1104
	v_cndmask_b32_e32 v42, v42, v1, vcc
	v_mov_b32_e32 v43, v3
	v_mul_lo_u32 v0, v20, v0
	v_mul_lo_u32 v5, v20, v40
	v_lshl_add_u64 v[54:55], v[42:43], 3, s[2:3]
	global_load_dwordx2 v[54:55], v[54:55], off offset:1104
	v_lshlrev_b32_sdwa v41, v72, v0 dst_sel:DWORD dst_unused:UNUSED_PAD src0_sel:DWORD src1_sel:BYTE_0
	v_lshlrev_b32_sdwa v19, v72, v5 dst_sel:DWORD dst_unused:UNUSED_PAD src0_sel:DWORD src1_sel:BYTE_0
	v_lshlrev_b32_sdwa v5, v72, v5 dst_sel:DWORD dst_unused:UNUSED_PAD src0_sel:DWORD src1_sel:BYTE_1
	v_lshlrev_b32_sdwa v0, v72, v0 dst_sel:DWORD dst_unused:UNUSED_PAD src0_sel:DWORD src1_sel:BYTE_1
	global_load_dwordx2 v[56:57], v41, s[0:1]
	global_load_dwordx2 v[58:59], v0, s[0:1] offset:2048
	global_load_dwordx2 v[60:61], v19, s[0:1]
	global_load_dwordx2 v[62:63], v5, s[0:1] offset:2048
	s_waitcnt vmcnt(15) lgkmcnt(1)
	v_pk_mul_f32 v[64:65], v[6:7], v[46:47] op_sel:[0,1]
	s_nop 0
	v_pk_fma_f32 v[66:67], v[6:7], v[46:47], v[64:65] op_sel:[0,0,1] op_sel_hi:[1,1,0]
	v_pk_fma_f32 v[6:7], v[6:7], v[46:47], v[64:65] op_sel:[0,0,1] op_sel_hi:[1,0,0] neg_lo:[1,0,0] neg_hi:[1,0,0]
	s_waitcnt vmcnt(13)
	v_mov_b32_e32 v0, v11
	v_mov_b32_e32 v67, v7
	v_pk_mul_f32 v[6:7], v[8:9], v[10:11] op_sel:[1,0] op_sel_hi:[0,1]
	v_pk_mul_f32 v[64:65], v[8:9], v[0:1] op_sel:[1,0] op_sel_hi:[0,1]
	v_mov_b32_e32 v0, v7
	s_waitcnt vmcnt(11)
	v_mul_f32_e32 v19, v12, v23
	v_pk_add_f32 v[46:47], v[36:37], v[66:67] neg_lo:[0,1] neg_hi:[0,1]
	v_pk_fma_f32 v[6:7], v[8:9], v[10:11], v[64:65] neg_lo:[0,0,1] neg_hi:[0,0,1]
	v_pk_fma_f32 v[8:9], v[8:9], v[10:11], v[0:1] op_sel:[1,0,0] op_sel_hi:[0,1,1]
	v_mul_f32_e32 v5, v13, v23
	v_fmac_f32_e32 v19, v13, v22
	v_fma_f32 v41, v36, 2.0, -v46
	v_pk_mul_f32 v[8:9], v[46:47], v[8:9] op_sel_hi:[1,0]
	v_fma_f32 v5, v12, v22, -v5
	v_fma_f32 v0, v37, 2.0, -v47
	v_mul_f32_e32 v22, v41, v19
	v_pk_fma_f32 v[10:11], v[46:47], v[6:7], v[8:9] op_sel:[0,0,1] op_sel_hi:[1,1,0]
	v_pk_fma_f32 v[12:13], v[46:47], v[6:7], v[8:9] op_sel:[0,0,1] op_sel_hi:[1,0,0] neg_lo:[0,0,1] neg_hi:[0,0,1]
	v_add_u32_e32 v6, 0x8c, v42
	v_fma_f32 v23, v0, v5, -v22
	v_mul_lo_u32 v6, v20, v6
	v_mul_f32_e32 v22, v0, v19
	s_waitcnt vmcnt(8)
	v_mov_b32_e32 v0, v29
	v_lshlrev_b32_sdwa v7, v72, v6 dst_sel:DWORD dst_unused:UNUSED_PAD src0_sel:DWORD src1_sel:BYTE_0
	v_lshlrev_b32_sdwa v6, v72, v6 dst_sel:DWORD dst_unused:UNUSED_PAD src0_sel:DWORD src1_sel:BYTE_1
	s_waitcnt vmcnt(7)
	v_pk_mul_f32 v[64:65], v[30:31], v[0:1] op_sel:[1,0] op_sel_hi:[0,1]
	v_mul_lo_u32 v0, v20, v42
	global_load_dwordx2 v[36:37], v7, s[0:1]
	global_load_dwordx2 v[46:47], v6, s[0:1] offset:2048
	v_fmac_f32_e32 v22, v41, v5
	ds_read2_b64 v[6:9], v33 offset1:252
	v_lshlrev_b32_sdwa v5, v72, v0 dst_sel:DWORD dst_unused:UNUSED_PAD src0_sel:DWORD src1_sel:BYTE_0
	v_lshlrev_b32_sdwa v0, v72, v0 dst_sel:DWORD dst_unused:UNUSED_PAD src0_sel:DWORD src1_sel:BYTE_1
	v_pk_mul_f32 v[70:71], v[30:31], v[28:29] op_sel:[1,0] op_sel_hi:[0,1]
	global_load_dwordx2 v[66:67], v5, s[0:1]
	global_load_dwordx2 v[68:69], v0, s[0:1] offset:2048
	v_mov_b32_e32 v0, v71
	v_pk_fma_f32 v[64:65], v[30:31], v[28:29], v[64:65] neg_lo:[0,0,1] neg_hi:[0,0,1]
	v_pk_fma_f32 v[28:29], v[30:31], v[28:29], v[0:1] op_sel:[1,0,0] op_sel_hi:[0,1,1]
	v_mul_lo_u32 v0, v20, v17
	v_lshlrev_b32_sdwa v5, v72, v0 dst_sel:DWORD dst_unused:UNUSED_PAD src0_sel:DWORD src1_sel:BYTE_0
	v_lshlrev_b32_sdwa v0, v72, v0 dst_sel:DWORD dst_unused:UNUSED_PAD src0_sel:DWORD src1_sel:BYTE_1
	global_load_dwordx2 v[30:31], v5, s[0:1]
	global_load_dwordx2 v[70:71], v0, s[0:1] offset:2048
	v_mul_f32_e32 v0, v25, v27
	v_mul_f32_e32 v5, v24, v27
	v_fma_f32 v0, v24, v26, -v0
	v_fmac_f32_e32 v5, v25, v26
	s_waitcnt vmcnt(12) lgkmcnt(0)
	v_pk_mul_f32 v[24:25], v[38:39], v[8:9] op_sel:[0,1]
	v_mul_lo_u32 v11, v20, v50
	v_pk_fma_f32 v[26:27], v[38:39], v[8:9], v[24:25] op_sel:[0,0,1] op_sel_hi:[1,1,0]
	v_pk_fma_f32 v[8:9], v[38:39], v[8:9], v[24:25] op_sel:[0,0,1] op_sel_hi:[1,0,0] neg_lo:[1,0,0] neg_hi:[1,0,0]
	v_lshlrev_b32_sdwa v12, v72, v11 dst_sel:DWORD dst_unused:UNUSED_PAD src0_sel:DWORD src1_sel:BYTE_0
	v_lshlrev_b32_e32 v8, 3, v50
	v_lshlrev_b32_sdwa v11, v72, v11 dst_sel:DWORD dst_unused:UNUSED_PAD src0_sel:DWORD src1_sel:BYTE_1
	global_load_dwordx2 v[72:73], v12, s[0:1]
	global_load_dwordx2 v[74:75], v11, s[0:1] offset:2048
	global_load_dwordx2 v[24:25], v8, s[2:3] offset:1104
	ds_read_b64 v[38:39], v35
	v_mov_b32_e32 v27, v9
	ds_read_b64 v[34:35], v34
	s_waitcnt vmcnt(9)
	v_mul_f32_e32 v12, v60, v63
	v_fmac_f32_e32 v12, v61, v62
	s_waitcnt lgkmcnt(1)
	v_pk_add_f32 v[8:9], v[38:39], v[26:27] neg_lo:[0,1] neg_hi:[0,1]
	v_mov_b32_e32 v19, v3
	v_pk_mul_f32 v[26:27], v[8:9], v[28:29] op_sel_hi:[1,0]
	v_lshl_add_u64 v[18:19], v[18:19], 3, s[8:9]
	v_pk_fma_f32 v[28:29], v[8:9], v[64:65], v[26:27] op_sel:[0,0,1] op_sel_hi:[1,1,0]
	v_pk_fma_f32 v[26:27], v[8:9], v[64:65], v[26:27] op_sel:[0,0,1] op_sel_hi:[1,0,0] neg_lo:[0,0,1] neg_hi:[0,0,1]
	v_fma_f32 v9, v39, 2.0, -v9
	v_fma_f32 v8, v38, 2.0, -v8
	v_mul_f32_e32 v11, v8, v5
	v_mul_f32_e32 v38, v9, v5
	v_fma_f32 v39, v9, v0, -v11
	v_fmac_f32_e32 v38, v8, v0
	v_pk_mul_f32 v[8:9], v[52:53], v[6:7] op_sel:[0,1]
	v_mov_b32_e32 v0, v59
	v_pk_fma_f32 v[64:65], v[52:53], v[6:7], v[8:9] op_sel:[0,0,1] op_sel_hi:[1,1,0]
	v_pk_fma_f32 v[6:7], v[52:53], v[6:7], v[8:9] op_sel:[0,0,1] op_sel_hi:[1,0,0] neg_lo:[1,0,0] neg_hi:[1,0,0]
	v_pk_mul_f32 v[52:53], v[56:57], v[58:59] op_sel:[1,0] op_sel_hi:[0,1]
	v_mov_b32_e32 v65, v7
	v_pk_mul_f32 v[8:9], v[56:57], v[0:1] op_sel:[1,0] op_sel_hi:[0,1]
	v_mov_b32_e32 v0, v53
	v_pk_add_f32 v[6:7], v[44:45], v[64:65] neg_lo:[0,1] neg_hi:[0,1]
	v_pk_fma_f32 v[52:53], v[56:57], v[58:59], v[0:1] op_sel:[1,0,0] op_sel_hi:[0,1,1]
	v_pk_fma_f32 v[8:9], v[56:57], v[58:59], v[8:9] neg_lo:[0,0,1] neg_hi:[0,0,1]
	v_pk_mul_f32 v[52:53], v[6:7], v[52:53] op_sel_hi:[1,0]
	v_fma_f32 v0, v45, 2.0, -v7
	v_pk_fma_f32 v[56:57], v[6:7], v[8:9], v[52:53] op_sel:[0,0,1] op_sel_hi:[1,1,0]
	v_pk_fma_f32 v[52:53], v[6:7], v[8:9], v[52:53] op_sel:[0,0,1] op_sel_hi:[1,0,0] neg_lo:[0,0,1] neg_hi:[0,0,1]
	v_fma_f32 v11, v44, 2.0, -v6
	ds_read2_b64 v[6:9], v32 offset1:252
	v_mul_f32_e32 v5, v61, v63
	v_fma_f32 v5, v60, v62, -v5
	v_mul_f32_e32 v17, v11, v12
	v_fma_f32 v33, v0, v5, -v17
	s_waitcnt lgkmcnt(0)
	v_pk_mul_f32 v[44:45], v[54:55], v[8:9] op_sel:[0,1]
	v_mul_f32_e32 v32, v0, v12
	v_pk_fma_f32 v[58:59], v[54:55], v[8:9], v[44:45] op_sel:[0,0,1] op_sel_hi:[1,1,0]
	v_pk_fma_f32 v[8:9], v[54:55], v[8:9], v[44:45] op_sel:[0,0,1] op_sel_hi:[1,0,0] neg_lo:[1,0,0] neg_hi:[1,0,0]
	v_fmac_f32_e32 v32, v11, v5
	v_mov_b32_e32 v59, v9
	v_pk_add_f32 v[8:9], v[34:35], v[58:59] neg_lo:[0,1] neg_hi:[0,1]
	v_mov_b32_e32 v17, v3
	v_fma_f32 v11, v34, 2.0, -v8
	v_lshl_add_u64 v[16:17], v[16:17], 3, s[8:9]
	v_mov_b32_e32 v57, v53
	v_mov_b32_e32 v29, v27
	s_waitcnt vmcnt(7)
	v_mov_b32_e32 v0, v47
	v_pk_mul_f32 v[54:55], v[36:37], v[46:47] op_sel:[1,0] op_sel_hi:[0,1]
	v_pk_mul_f32 v[44:45], v[36:37], v[0:1] op_sel:[1,0] op_sel_hi:[0,1]
	v_mov_b32_e32 v0, v55
	v_pk_fma_f32 v[44:45], v[36:37], v[46:47], v[44:45] neg_lo:[0,0,1] neg_hi:[0,0,1]
	v_pk_fma_f32 v[36:37], v[36:37], v[46:47], v[0:1] op_sel:[1,0,0] op_sel_hi:[0,1,1]
	v_pk_mul_f32 v[36:37], v[8:9], v[36:37] op_sel_hi:[1,0]
	s_waitcnt vmcnt(5)
	v_mul_f32_e32 v5, v67, v69
	v_pk_fma_f32 v[46:47], v[8:9], v[44:45], v[36:37] op_sel:[0,0,1] op_sel_hi:[1,1,0]
	v_pk_fma_f32 v[36:37], v[8:9], v[44:45], v[36:37] op_sel:[0,0,1] op_sel_hi:[1,0,0] neg_lo:[0,0,1] neg_hi:[0,0,1]
	v_mul_f32_e32 v8, v66, v69
	v_fmac_f32_e32 v8, v67, v68
	v_fma_f32 v0, v35, 2.0, -v9
	v_fma_f32 v5, v66, v68, -v5
	v_mul_f32_e32 v9, v11, v8
	v_fma_f32 v9, v0, v5, -v9
	v_mul_f32_e32 v8, v0, v8
	s_waitcnt vmcnt(3)
	v_mov_b32_e32 v0, v71
	v_pk_mul_f32 v[44:45], v[30:31], v[70:71] op_sel:[1,0] op_sel_hi:[0,1]
	v_pk_mul_f32 v[34:35], v[30:31], v[0:1] op_sel:[1,0] op_sel_hi:[0,1]
	v_mov_b32_e32 v0, v45
	v_pk_fma_f32 v[34:35], v[30:31], v[70:71], v[34:35] neg_lo:[0,0,1] neg_hi:[0,0,1]
	v_pk_fma_f32 v[30:31], v[30:31], v[70:71], v[0:1] op_sel:[1,0,0] op_sel_hi:[0,1,1]
	v_fmac_f32_e32 v8, v11, v5
	v_mov_b32_e32 v47, v37
	s_waitcnt vmcnt(1)
	v_mul_f32_e32 v5, v72, v75
	s_waitcnt vmcnt(0)
	v_pk_mul_f32 v[44:45], v[24:25], v[6:7] op_sel:[0,1]
	v_mul_f32_e32 v0, v73, v75
	v_pk_fma_f32 v[54:55], v[24:25], v[6:7], v[44:45] op_sel:[0,0,1] op_sel_hi:[1,1,0]
	v_pk_fma_f32 v[6:7], v[24:25], v[6:7], v[44:45] op_sel:[0,0,1] op_sel_hi:[1,0,0] neg_lo:[1,0,0] neg_hi:[1,0,0]
	v_fmac_f32_e32 v5, v74, v73
	v_mov_b32_e32 v55, v7
	v_pk_add_f32 v[6:7], v[48:49], v[54:55] neg_lo:[0,1] neg_hi:[0,1]
	v_fma_f32 v0, v72, v74, -v0
	v_pk_mul_f32 v[24:25], v[6:7], v[30:31] op_sel_hi:[1,0]
	v_fma_f32 v11, v49, 2.0, -v7
	v_pk_fma_f32 v[30:31], v[6:7], v[34:35], v[24:25] op_sel:[0,0,1] op_sel_hi:[1,1,0]
	v_pk_fma_f32 v[24:25], v[6:7], v[34:35], v[24:25] op_sel:[0,0,1] op_sel_hi:[1,0,0] neg_lo:[0,0,1] neg_hi:[0,0,1]
	v_fma_f32 v6, v48, 2.0, -v6
	v_mul_f32_e32 v7, v5, v6
	v_fma_f32 v7, v11, v0, -v7
	v_mul_f32_e32 v6, v0, v6
	v_sub_u32_e32 v0, v1, v42
	v_fmac_f32_e32 v6, v11, v5
	v_add_u32_e32 v1, v0, v1
	v_add_u32_e32 v0, s17, v14
	global_store_dwordx2 v[16:17], v[6:7], off
	v_mad_u64_u32 v[6:7], s[0:1], s4, v1, v[0:1]
	v_mov_b32_e32 v7, v3
	v_mov_b32_e32 v31, v25
	v_lshl_add_u64 v[6:7], v[6:7], 3, s[8:9]
	v_add_u32_e32 v1, 0x8c, v1
	global_store_dwordx2 v[18:19], v[30:31], off
	global_store_dwordx2 v[6:7], v[8:9], off
	v_mad_u64_u32 v[6:7], s[0:1], s4, v1, v[0:1]
	v_mov_b32_e32 v7, v3
	v_sub_u32_e32 v1, v15, v40
	v_lshl_add_u64 v[6:7], v[6:7], 3, s[8:9]
	v_add_u32_e32 v1, v1, v15
	global_store_dwordx2 v[6:7], v[46:47], off
	v_mad_u64_u32 v[6:7], s[0:1], s4, v1, v[0:1]
	v_mov_b32_e32 v7, v3
	v_lshl_add_u64 v[6:7], v[6:7], 3, s[8:9]
	v_add_u32_e32 v1, 0x8c, v1
	global_store_dwordx2 v[6:7], v[32:33], off
	v_mad_u64_u32 v[6:7], s[0:1], s4, v1, v[0:1]
	v_sub_u32_e32 v1, v21, v4
	v_add_u32_e32 v1, v1, v21
	v_mad_u64_u32 v[4:5], s[0:1], s4, v1, v[0:1]
	v_mov_b32_e32 v7, v3
	v_mov_b32_e32 v5, v3
	v_lshl_add_u64 v[6:7], v[6:7], 3, s[8:9]
	v_lshl_add_u64 v[4:5], v[4:5], 3, s[8:9]
	v_add_u32_e32 v1, 0x8c, v1
	global_store_dwordx2 v[6:7], v[56:57], off
	global_store_dwordx2 v[4:5], v[38:39], off
	v_mad_u64_u32 v[4:5], s[0:1], s4, v1, v[0:1]
	v_mov_b32_e32 v5, v3
	v_sub_u32_e32 v1, v51, v2
	v_lshl_add_u64 v[4:5], v[4:5], 3, s[8:9]
	v_add_u32_e32 v1, v1, v51
	global_store_dwordx2 v[4:5], v[28:29], off
	v_mad_u64_u32 v[4:5], s[0:1], s4, v1, v[0:1]
	v_add_u32_e32 v1, 0x8c, v1
	v_mad_u64_u32 v[0:1], s[0:1], s4, v1, v[0:1]
	v_mov_b32_e32 v5, v3
	v_mov_b32_e32 v1, v3
	v_lshl_add_u64 v[4:5], v[4:5], 3, s[8:9]
	v_lshl_add_u64 v[0:1], v[0:1], 3, s[8:9]
	v_mov_b32_e32 v11, v13
	global_store_dwordx2 v[4:5], v[22:23], off
	global_store_dwordx2 v[0:1], v[10:11], off
.LBB0_32:
	s_endpgm
	.section	.rodata,"a",@progbits
	.p2align	6, 0x0
	.amdhsa_kernel fft_rtc_back_len280_factors_2_7_10_2_wgs_252_tpt_28_dim3_sp_ip_CI_sbcc_twdbase8_2step_dirReg_intrinsicReadWrite
		.amdhsa_group_segment_fixed_size 0
		.amdhsa_private_segment_fixed_size 0
		.amdhsa_kernarg_size 88
		.amdhsa_user_sgpr_count 2
		.amdhsa_user_sgpr_dispatch_ptr 0
		.amdhsa_user_sgpr_queue_ptr 0
		.amdhsa_user_sgpr_kernarg_segment_ptr 1
		.amdhsa_user_sgpr_dispatch_id 0
		.amdhsa_user_sgpr_kernarg_preload_length 0
		.amdhsa_user_sgpr_kernarg_preload_offset 0
		.amdhsa_user_sgpr_private_segment_size 0
		.amdhsa_uses_dynamic_stack 0
		.amdhsa_enable_private_segment 0
		.amdhsa_system_sgpr_workgroup_id_x 1
		.amdhsa_system_sgpr_workgroup_id_y 0
		.amdhsa_system_sgpr_workgroup_id_z 0
		.amdhsa_system_sgpr_workgroup_info 0
		.amdhsa_system_vgpr_workitem_id 0
		.amdhsa_next_free_vgpr 86
		.amdhsa_next_free_sgpr 28
		.amdhsa_accum_offset 88
		.amdhsa_reserve_vcc 1
		.amdhsa_float_round_mode_32 0
		.amdhsa_float_round_mode_16_64 0
		.amdhsa_float_denorm_mode_32 3
		.amdhsa_float_denorm_mode_16_64 3
		.amdhsa_dx10_clamp 1
		.amdhsa_ieee_mode 1
		.amdhsa_fp16_overflow 0
		.amdhsa_tg_split 0
		.amdhsa_exception_fp_ieee_invalid_op 0
		.amdhsa_exception_fp_denorm_src 0
		.amdhsa_exception_fp_ieee_div_zero 0
		.amdhsa_exception_fp_ieee_overflow 0
		.amdhsa_exception_fp_ieee_underflow 0
		.amdhsa_exception_fp_ieee_inexact 0
		.amdhsa_exception_int_div_zero 0
	.end_amdhsa_kernel
	.text
.Lfunc_end0:
	.size	fft_rtc_back_len280_factors_2_7_10_2_wgs_252_tpt_28_dim3_sp_ip_CI_sbcc_twdbase8_2step_dirReg_intrinsicReadWrite, .Lfunc_end0-fft_rtc_back_len280_factors_2_7_10_2_wgs_252_tpt_28_dim3_sp_ip_CI_sbcc_twdbase8_2step_dirReg_intrinsicReadWrite
                                        ; -- End function
	.section	.AMDGPU.csdata,"",@progbits
; Kernel info:
; codeLenInByte = 6956
; NumSgprs: 34
; NumVgprs: 86
; NumAgprs: 0
; TotalNumVgprs: 86
; ScratchSize: 0
; MemoryBound: 0
; FloatMode: 240
; IeeeMode: 1
; LDSByteSize: 0 bytes/workgroup (compile time only)
; SGPRBlocks: 4
; VGPRBlocks: 10
; NumSGPRsForWavesPerEU: 34
; NumVGPRsForWavesPerEU: 86
; AccumOffset: 88
; Occupancy: 5
; WaveLimiterHint : 1
; COMPUTE_PGM_RSRC2:SCRATCH_EN: 0
; COMPUTE_PGM_RSRC2:USER_SGPR: 2
; COMPUTE_PGM_RSRC2:TRAP_HANDLER: 0
; COMPUTE_PGM_RSRC2:TGID_X_EN: 1
; COMPUTE_PGM_RSRC2:TGID_Y_EN: 0
; COMPUTE_PGM_RSRC2:TGID_Z_EN: 0
; COMPUTE_PGM_RSRC2:TIDIG_COMP_CNT: 0
; COMPUTE_PGM_RSRC3_GFX90A:ACCUM_OFFSET: 21
; COMPUTE_PGM_RSRC3_GFX90A:TG_SPLIT: 0
	.text
	.p2alignl 6, 3212836864
	.fill 256, 4, 3212836864
	.type	__hip_cuid_282575effcf1377d,@object ; @__hip_cuid_282575effcf1377d
	.section	.bss,"aw",@nobits
	.globl	__hip_cuid_282575effcf1377d
__hip_cuid_282575effcf1377d:
	.byte	0                               ; 0x0
	.size	__hip_cuid_282575effcf1377d, 1

	.ident	"AMD clang version 19.0.0git (https://github.com/RadeonOpenCompute/llvm-project roc-6.4.0 25133 c7fe45cf4b819c5991fe208aaa96edf142730f1d)"
	.section	".note.GNU-stack","",@progbits
	.addrsig
	.addrsig_sym __hip_cuid_282575effcf1377d
	.amdgpu_metadata
---
amdhsa.kernels:
  - .agpr_count:     0
    .args:
      - .actual_access:  read_only
        .address_space:  global
        .offset:         0
        .size:           8
        .value_kind:     global_buffer
      - .address_space:  global
        .offset:         8
        .size:           8
        .value_kind:     global_buffer
      - .actual_access:  read_only
        .address_space:  global
        .offset:         16
        .size:           8
        .value_kind:     global_buffer
      - .actual_access:  read_only
        .address_space:  global
        .offset:         24
        .size:           8
        .value_kind:     global_buffer
      - .offset:         32
        .size:           8
        .value_kind:     by_value
      - .actual_access:  read_only
        .address_space:  global
        .offset:         40
        .size:           8
        .value_kind:     global_buffer
      - .actual_access:  read_only
        .address_space:  global
        .offset:         48
        .size:           8
        .value_kind:     global_buffer
      - .offset:         56
        .size:           4
        .value_kind:     by_value
      - .actual_access:  read_only
        .address_space:  global
        .offset:         64
        .size:           8
        .value_kind:     global_buffer
      - .actual_access:  read_only
        .address_space:  global
        .offset:         72
        .size:           8
        .value_kind:     global_buffer
      - .address_space:  global
        .offset:         80
        .size:           8
        .value_kind:     global_buffer
    .group_segment_fixed_size: 0
    .kernarg_segment_align: 8
    .kernarg_segment_size: 88
    .language:       OpenCL C
    .language_version:
      - 2
      - 0
    .max_flat_workgroup_size: 252
    .name:           fft_rtc_back_len280_factors_2_7_10_2_wgs_252_tpt_28_dim3_sp_ip_CI_sbcc_twdbase8_2step_dirReg_intrinsicReadWrite
    .private_segment_fixed_size: 0
    .sgpr_count:     34
    .sgpr_spill_count: 0
    .symbol:         fft_rtc_back_len280_factors_2_7_10_2_wgs_252_tpt_28_dim3_sp_ip_CI_sbcc_twdbase8_2step_dirReg_intrinsicReadWrite.kd
    .uniform_work_group_size: 1
    .uses_dynamic_stack: false
    .vgpr_count:     86
    .vgpr_spill_count: 0
    .wavefront_size: 64
amdhsa.target:   amdgcn-amd-amdhsa--gfx950
amdhsa.version:
  - 1
  - 2
...

	.end_amdgpu_metadata
